;; amdgpu-corpus repo=ROCm/rocFFT kind=compiled arch=gfx1201 opt=O3
	.text
	.amdgcn_target "amdgcn-amd-amdhsa--gfx1201"
	.amdhsa_code_object_version 6
	.protected	fft_rtc_fwd_len1152_factors_4_3_8_3_4_wgs_144_tpt_144_halfLds_dp_ip_CI_sbrr_dirReg ; -- Begin function fft_rtc_fwd_len1152_factors_4_3_8_3_4_wgs_144_tpt_144_halfLds_dp_ip_CI_sbrr_dirReg
	.globl	fft_rtc_fwd_len1152_factors_4_3_8_3_4_wgs_144_tpt_144_halfLds_dp_ip_CI_sbrr_dirReg
	.p2align	8
	.type	fft_rtc_fwd_len1152_factors_4_3_8_3_4_wgs_144_tpt_144_halfLds_dp_ip_CI_sbrr_dirReg,@function
fft_rtc_fwd_len1152_factors_4_3_8_3_4_wgs_144_tpt_144_halfLds_dp_ip_CI_sbrr_dirReg: ; @fft_rtc_fwd_len1152_factors_4_3_8_3_4_wgs_144_tpt_144_halfLds_dp_ip_CI_sbrr_dirReg
; %bb.0:
	s_clause 0x2
	s_load_b64 s[12:13], s[0:1], 0x18
	s_load_b128 s[4:7], s[0:1], 0x0
	s_load_b64 s[10:11], s[0:1], 0x50
	v_mul_u32_u24_e32 v1, 0x1c8, v0
	v_mov_b32_e32 v3, 0
	s_delay_alu instid0(VALU_DEP_2) | instskip(NEXT) | instid1(VALU_DEP_1)
	v_lshrrev_b32_e32 v1, 16, v1
	v_add_nc_u32_e32 v5, ttmp9, v1
	v_mov_b32_e32 v1, 0
	v_mov_b32_e32 v2, 0
	;; [unrolled: 1-line block ×3, first 2 shown]
	s_wait_kmcnt 0x0
	s_load_b64 s[8:9], s[12:13], 0x0
	v_cmp_lt_u64_e64 s2, s[6:7], 2
	s_delay_alu instid0(VALU_DEP_1)
	s_and_b32 vcc_lo, exec_lo, s2
	s_cbranch_vccnz .LBB0_8
; %bb.1:
	s_load_b64 s[2:3], s[0:1], 0x10
	v_mov_b32_e32 v1, 0
	v_mov_b32_e32 v2, 0
	s_add_nc_u64 s[14:15], s[12:13], 8
	s_mov_b64 s[16:17], 1
	s_wait_kmcnt 0x0
	s_add_nc_u64 s[18:19], s[2:3], 8
	s_mov_b32 s3, 0
.LBB0_2:                                ; =>This Inner Loop Header: Depth=1
	s_load_b64 s[20:21], s[18:19], 0x0
                                        ; implicit-def: $vgpr7_vgpr8
	s_mov_b32 s2, exec_lo
	s_wait_kmcnt 0x0
	v_or_b32_e32 v4, s21, v6
	s_delay_alu instid0(VALU_DEP_1)
	v_cmpx_ne_u64_e32 0, v[3:4]
	s_wait_alu 0xfffe
	s_xor_b32 s22, exec_lo, s2
	s_cbranch_execz .LBB0_4
; %bb.3:                                ;   in Loop: Header=BB0_2 Depth=1
	s_cvt_f32_u32 s2, s20
	s_cvt_f32_u32 s23, s21
	s_sub_nc_u64 s[26:27], 0, s[20:21]
	s_wait_alu 0xfffe
	s_delay_alu instid0(SALU_CYCLE_1) | instskip(SKIP_1) | instid1(SALU_CYCLE_2)
	s_fmamk_f32 s2, s23, 0x4f800000, s2
	s_wait_alu 0xfffe
	v_s_rcp_f32 s2, s2
	s_delay_alu instid0(TRANS32_DEP_1) | instskip(SKIP_1) | instid1(SALU_CYCLE_2)
	s_mul_f32 s2, s2, 0x5f7ffffc
	s_wait_alu 0xfffe
	s_mul_f32 s23, s2, 0x2f800000
	s_wait_alu 0xfffe
	s_delay_alu instid0(SALU_CYCLE_2) | instskip(SKIP_1) | instid1(SALU_CYCLE_2)
	s_trunc_f32 s23, s23
	s_wait_alu 0xfffe
	s_fmamk_f32 s2, s23, 0xcf800000, s2
	s_cvt_u32_f32 s25, s23
	s_wait_alu 0xfffe
	s_delay_alu instid0(SALU_CYCLE_1) | instskip(SKIP_1) | instid1(SALU_CYCLE_2)
	s_cvt_u32_f32 s24, s2
	s_wait_alu 0xfffe
	s_mul_u64 s[28:29], s[26:27], s[24:25]
	s_wait_alu 0xfffe
	s_mul_hi_u32 s31, s24, s29
	s_mul_i32 s30, s24, s29
	s_mul_hi_u32 s2, s24, s28
	s_mul_i32 s33, s25, s28
	s_wait_alu 0xfffe
	s_add_nc_u64 s[30:31], s[2:3], s[30:31]
	s_mul_hi_u32 s23, s25, s28
	s_mul_hi_u32 s34, s25, s29
	s_add_co_u32 s2, s30, s33
	s_wait_alu 0xfffe
	s_add_co_ci_u32 s2, s31, s23
	s_mul_i32 s28, s25, s29
	s_add_co_ci_u32 s29, s34, 0
	s_wait_alu 0xfffe
	s_add_nc_u64 s[28:29], s[2:3], s[28:29]
	s_wait_alu 0xfffe
	v_add_co_u32 v4, s2, s24, s28
	s_delay_alu instid0(VALU_DEP_1) | instskip(SKIP_1) | instid1(VALU_DEP_1)
	s_cmp_lg_u32 s2, 0
	s_add_co_ci_u32 s25, s25, s29
	v_readfirstlane_b32 s24, v4
	s_wait_alu 0xfffe
	s_delay_alu instid0(VALU_DEP_1)
	s_mul_u64 s[26:27], s[26:27], s[24:25]
	s_wait_alu 0xfffe
	s_mul_hi_u32 s29, s24, s27
	s_mul_i32 s28, s24, s27
	s_mul_hi_u32 s2, s24, s26
	s_mul_i32 s30, s25, s26
	s_wait_alu 0xfffe
	s_add_nc_u64 s[28:29], s[2:3], s[28:29]
	s_mul_hi_u32 s23, s25, s26
	s_mul_hi_u32 s24, s25, s27
	s_wait_alu 0xfffe
	s_add_co_u32 s2, s28, s30
	s_add_co_ci_u32 s2, s29, s23
	s_mul_i32 s26, s25, s27
	s_add_co_ci_u32 s27, s24, 0
	s_wait_alu 0xfffe
	s_add_nc_u64 s[26:27], s[2:3], s[26:27]
	s_wait_alu 0xfffe
	v_add_co_u32 v4, s2, v4, s26
	s_delay_alu instid0(VALU_DEP_1) | instskip(SKIP_1) | instid1(VALU_DEP_1)
	s_cmp_lg_u32 s2, 0
	s_add_co_ci_u32 s2, s25, s27
	v_mul_hi_u32 v13, v5, v4
	s_wait_alu 0xfffe
	v_mad_co_u64_u32 v[7:8], null, v5, s2, 0
	v_mad_co_u64_u32 v[9:10], null, v6, v4, 0
	;; [unrolled: 1-line block ×3, first 2 shown]
	s_delay_alu instid0(VALU_DEP_3) | instskip(SKIP_1) | instid1(VALU_DEP_4)
	v_add_co_u32 v4, vcc_lo, v13, v7
	s_wait_alu 0xfffd
	v_add_co_ci_u32_e32 v7, vcc_lo, 0, v8, vcc_lo
	s_delay_alu instid0(VALU_DEP_2) | instskip(SKIP_1) | instid1(VALU_DEP_2)
	v_add_co_u32 v4, vcc_lo, v4, v9
	s_wait_alu 0xfffd
	v_add_co_ci_u32_e32 v4, vcc_lo, v7, v10, vcc_lo
	s_wait_alu 0xfffd
	v_add_co_ci_u32_e32 v7, vcc_lo, 0, v12, vcc_lo
	s_delay_alu instid0(VALU_DEP_2) | instskip(SKIP_1) | instid1(VALU_DEP_2)
	v_add_co_u32 v4, vcc_lo, v4, v11
	s_wait_alu 0xfffd
	v_add_co_ci_u32_e32 v9, vcc_lo, 0, v7, vcc_lo
	s_delay_alu instid0(VALU_DEP_2) | instskip(SKIP_1) | instid1(VALU_DEP_3)
	v_mul_lo_u32 v10, s21, v4
	v_mad_co_u64_u32 v[7:8], null, s20, v4, 0
	v_mul_lo_u32 v11, s20, v9
	s_delay_alu instid0(VALU_DEP_2) | instskip(NEXT) | instid1(VALU_DEP_2)
	v_sub_co_u32 v7, vcc_lo, v5, v7
	v_add3_u32 v8, v8, v11, v10
	s_delay_alu instid0(VALU_DEP_1) | instskip(SKIP_1) | instid1(VALU_DEP_1)
	v_sub_nc_u32_e32 v10, v6, v8
	s_wait_alu 0xfffd
	v_subrev_co_ci_u32_e64 v10, s2, s21, v10, vcc_lo
	v_add_co_u32 v11, s2, v4, 2
	s_wait_alu 0xf1ff
	v_add_co_ci_u32_e64 v12, s2, 0, v9, s2
	v_sub_co_u32 v13, s2, v7, s20
	v_sub_co_ci_u32_e32 v8, vcc_lo, v6, v8, vcc_lo
	s_wait_alu 0xf1ff
	v_subrev_co_ci_u32_e64 v10, s2, 0, v10, s2
	s_delay_alu instid0(VALU_DEP_3) | instskip(NEXT) | instid1(VALU_DEP_3)
	v_cmp_le_u32_e32 vcc_lo, s20, v13
	v_cmp_eq_u32_e64 s2, s21, v8
	s_wait_alu 0xfffd
	v_cndmask_b32_e64 v13, 0, -1, vcc_lo
	v_cmp_le_u32_e32 vcc_lo, s21, v10
	s_wait_alu 0xfffd
	v_cndmask_b32_e64 v14, 0, -1, vcc_lo
	v_cmp_le_u32_e32 vcc_lo, s20, v7
	;; [unrolled: 3-line block ×3, first 2 shown]
	s_wait_alu 0xfffd
	v_cndmask_b32_e64 v15, 0, -1, vcc_lo
	v_cmp_eq_u32_e32 vcc_lo, s21, v10
	s_wait_alu 0xf1ff
	s_delay_alu instid0(VALU_DEP_2)
	v_cndmask_b32_e64 v7, v15, v7, s2
	s_wait_alu 0xfffd
	v_cndmask_b32_e32 v10, v14, v13, vcc_lo
	v_add_co_u32 v13, vcc_lo, v4, 1
	s_wait_alu 0xfffd
	v_add_co_ci_u32_e32 v14, vcc_lo, 0, v9, vcc_lo
	s_delay_alu instid0(VALU_DEP_3) | instskip(SKIP_2) | instid1(VALU_DEP_3)
	v_cmp_ne_u32_e32 vcc_lo, 0, v10
	s_wait_alu 0xfffd
	v_cndmask_b32_e32 v10, v13, v11, vcc_lo
	v_cndmask_b32_e32 v8, v14, v12, vcc_lo
	v_cmp_ne_u32_e32 vcc_lo, 0, v7
	s_wait_alu 0xfffd
	s_delay_alu instid0(VALU_DEP_2)
	v_dual_cndmask_b32 v7, v4, v10 :: v_dual_cndmask_b32 v8, v9, v8
.LBB0_4:                                ;   in Loop: Header=BB0_2 Depth=1
	s_wait_alu 0xfffe
	s_and_not1_saveexec_b32 s2, s22
	s_cbranch_execz .LBB0_6
; %bb.5:                                ;   in Loop: Header=BB0_2 Depth=1
	v_cvt_f32_u32_e32 v4, s20
	s_sub_co_i32 s22, 0, s20
	s_delay_alu instid0(VALU_DEP_1) | instskip(NEXT) | instid1(TRANS32_DEP_1)
	v_rcp_iflag_f32_e32 v4, v4
	v_mul_f32_e32 v4, 0x4f7ffffe, v4
	s_delay_alu instid0(VALU_DEP_1) | instskip(SKIP_1) | instid1(VALU_DEP_1)
	v_cvt_u32_f32_e32 v4, v4
	s_wait_alu 0xfffe
	v_mul_lo_u32 v7, s22, v4
	s_delay_alu instid0(VALU_DEP_1) | instskip(NEXT) | instid1(VALU_DEP_1)
	v_mul_hi_u32 v7, v4, v7
	v_add_nc_u32_e32 v4, v4, v7
	s_delay_alu instid0(VALU_DEP_1) | instskip(NEXT) | instid1(VALU_DEP_1)
	v_mul_hi_u32 v4, v5, v4
	v_mul_lo_u32 v7, v4, s20
	v_add_nc_u32_e32 v8, 1, v4
	s_delay_alu instid0(VALU_DEP_2) | instskip(NEXT) | instid1(VALU_DEP_1)
	v_sub_nc_u32_e32 v7, v5, v7
	v_subrev_nc_u32_e32 v9, s20, v7
	v_cmp_le_u32_e32 vcc_lo, s20, v7
	s_wait_alu 0xfffd
	s_delay_alu instid0(VALU_DEP_2) | instskip(NEXT) | instid1(VALU_DEP_1)
	v_dual_cndmask_b32 v7, v7, v9 :: v_dual_cndmask_b32 v4, v4, v8
	v_cmp_le_u32_e32 vcc_lo, s20, v7
	s_delay_alu instid0(VALU_DEP_2) | instskip(SKIP_1) | instid1(VALU_DEP_1)
	v_add_nc_u32_e32 v8, 1, v4
	s_wait_alu 0xfffd
	v_dual_cndmask_b32 v7, v4, v8 :: v_dual_mov_b32 v8, v3
.LBB0_6:                                ;   in Loop: Header=BB0_2 Depth=1
	s_wait_alu 0xfffe
	s_or_b32 exec_lo, exec_lo, s2
	s_load_b64 s[22:23], s[14:15], 0x0
	s_delay_alu instid0(VALU_DEP_1)
	v_mul_lo_u32 v4, v8, s20
	v_mul_lo_u32 v11, v7, s21
	v_mad_co_u64_u32 v[9:10], null, v7, s20, 0
	s_add_nc_u64 s[16:17], s[16:17], 1
	s_add_nc_u64 s[14:15], s[14:15], 8
	s_wait_alu 0xfffe
	v_cmp_ge_u64_e64 s2, s[16:17], s[6:7]
	s_add_nc_u64 s[18:19], s[18:19], 8
	s_delay_alu instid0(VALU_DEP_2) | instskip(NEXT) | instid1(VALU_DEP_3)
	v_add3_u32 v4, v10, v11, v4
	v_sub_co_u32 v5, vcc_lo, v5, v9
	s_wait_alu 0xfffd
	s_delay_alu instid0(VALU_DEP_2) | instskip(SKIP_3) | instid1(VALU_DEP_2)
	v_sub_co_ci_u32_e32 v4, vcc_lo, v6, v4, vcc_lo
	s_and_b32 vcc_lo, exec_lo, s2
	s_wait_kmcnt 0x0
	v_mul_lo_u32 v6, s23, v5
	v_mul_lo_u32 v4, s22, v4
	v_mad_co_u64_u32 v[1:2], null, s22, v5, v[1:2]
	s_delay_alu instid0(VALU_DEP_1)
	v_add3_u32 v2, v6, v2, v4
	s_wait_alu 0xfffe
	s_cbranch_vccnz .LBB0_9
; %bb.7:                                ;   in Loop: Header=BB0_2 Depth=1
	v_dual_mov_b32 v5, v7 :: v_dual_mov_b32 v6, v8
	s_branch .LBB0_2
.LBB0_8:
	v_dual_mov_b32 v8, v6 :: v_dual_mov_b32 v7, v5
.LBB0_9:
	s_lshl_b64 s[2:3], s[6:7], 3
	v_mul_hi_u32 v3, 0x1c71c72, v0
	s_wait_alu 0xfffe
	s_add_nc_u64 s[2:3], s[12:13], s[2:3]
                                        ; implicit-def: $vgpr57
                                        ; implicit-def: $vgpr61
	s_load_b64 s[2:3], s[2:3], 0x0
	s_load_b64 s[0:1], s[0:1], 0x20
	s_delay_alu instid0(VALU_DEP_1) | instskip(NEXT) | instid1(VALU_DEP_1)
	v_mul_u32_u24_e32 v3, 0x90, v3
	v_sub_nc_u32_e32 v53, v0, v3
	s_delay_alu instid0(VALU_DEP_1)
	v_add_nc_u32_e32 v52, 0x90, v53
	v_add_nc_u32_e32 v54, 0x120, v53
	s_wait_kmcnt 0x0
	v_mul_lo_u32 v4, s2, v8
	v_mul_lo_u32 v5, s3, v7
	v_mad_co_u64_u32 v[1:2], null, s2, v7, v[1:2]
	v_cmp_gt_u64_e32 vcc_lo, s[0:1], v[7:8]
	v_cmp_le_u64_e64 s0, s[0:1], v[7:8]
	s_delay_alu instid0(VALU_DEP_3) | instskip(NEXT) | instid1(VALU_DEP_2)
	v_add3_u32 v2, v5, v2, v4
	s_and_saveexec_b32 s1, s0
	s_wait_alu 0xfffe
	s_xor_b32 s0, exec_lo, s1
; %bb.10:
	v_add_nc_u32_e32 v57, 0x90, v53
	v_add_nc_u32_e32 v61, 0x120, v53
; %bb.11:
	s_wait_alu 0xfffe
	s_or_saveexec_b32 s1, s0
	v_lshlrev_b64_e32 v[38:39], 4, v[1:2]
	v_add_nc_u32_e32 v55, 0x240, v53
	v_add_nc_u32_e32 v56, 0x360, v53
                                        ; implicit-def: $vgpr4_vgpr5
                                        ; implicit-def: $vgpr28_vgpr29
                                        ; implicit-def: $vgpr32_vgpr33
                                        ; implicit-def: $vgpr14_vgpr15
                                        ; implicit-def: $vgpr18_vgpr19
                                        ; implicit-def: $vgpr22_vgpr23
                                        ; implicit-def: $vgpr36_vgpr37
                                        ; implicit-def: $vgpr8_vgpr9
	s_wait_alu 0xfffe
	s_xor_b32 exec_lo, exec_lo, s1
	s_cbranch_execz .LBB0_13
; %bb.12:
	v_mad_co_u64_u32 v[0:1], null, s8, v53, 0
	v_mad_co_u64_u32 v[2:3], null, s8, v54, 0
	;; [unrolled: 1-line block ×5, first 2 shown]
	s_delay_alu instid0(VALU_DEP_4) | instskip(SKIP_4) | instid1(VALU_DEP_3)
	v_mad_co_u64_u32 v[4:5], null, s9, v53, v[1:2]
	v_mov_b32_e32 v1, v3
	v_add_co_u32 v25, s0, s10, v38
	s_wait_alu 0xf1ff
	v_add_co_ci_u32_e64 v26, s0, s11, v39, s0
	v_mad_co_u64_u32 v[5:6], null, s9, v54, v[1:2]
	v_dual_mov_b32 v1, v4 :: v_dual_mov_b32 v4, v11
	v_add_nc_u32_e32 v21, 0x1b0, v53
	v_dual_mov_b32 v61, v54 :: v_dual_add_nc_u32 v24, 0x3f0, v53
	s_delay_alu instid0(VALU_DEP_3)
	v_lshlrev_b64_e32 v[0:1], 4, v[0:1]
	v_mov_b32_e32 v3, v5
	v_mad_co_u64_u32 v[4:5], null, s9, v55, v[4:5]
	v_mov_b32_e32 v5, v13
	v_mov_b32_e32 v57, v52
	v_add_co_u32 v0, s0, v25, v0
	s_wait_alu 0xf1ff
	v_add_co_ci_u32_e64 v1, s0, v26, v1, s0
	v_mad_co_u64_u32 v[16:17], null, s9, v56, v[5:6]
	v_mov_b32_e32 v11, v4
	v_mad_co_u64_u32 v[17:18], null, s8, v21, 0
	s_delay_alu instid0(VALU_DEP_3) | instskip(SKIP_1) | instid1(VALU_DEP_2)
	v_dual_mov_b32 v13, v16 :: v_dual_add_nc_u32 v16, 0x2d0, v53
	v_lshlrev_b64_e32 v[2:3], 4, v[2:3]
	v_lshlrev_b64_e32 v[12:13], 4, v[12:13]
	s_delay_alu instid0(VALU_DEP_3) | instskip(NEXT) | instid1(VALU_DEP_3)
	v_mad_co_u64_u32 v[19:20], null, s8, v16, 0
	v_add_co_u32 v2, s0, v25, v2
	s_wait_alu 0xf1ff
	s_delay_alu instid0(VALU_DEP_4) | instskip(SKIP_4) | instid1(VALU_DEP_1)
	v_add_co_ci_u32_e64 v3, s0, v26, v3, s0
	s_clause 0x1
	global_load_b128 v[6:9], v[0:1], off
	global_load_b128 v[2:5], v[2:3], off
	v_mov_b32_e32 v0, v15
	v_mad_co_u64_u32 v[0:1], null, s9, v52, v[0:1]
	v_mov_b32_e32 v1, v18
	s_delay_alu instid0(VALU_DEP_2) | instskip(NEXT) | instid1(VALU_DEP_1)
	v_mov_b32_e32 v15, v0
	v_lshlrev_b64_e32 v[14:15], 4, v[14:15]
	s_wait_loadcnt 0x0
	s_delay_alu instid0(VALU_DEP_3) | instskip(SKIP_1) | instid1(VALU_DEP_2)
	v_mad_co_u64_u32 v[21:22], null, s9, v21, v[1:2]
	v_mad_co_u64_u32 v[22:23], null, s8, v24, 0
	v_dual_mov_b32 v1, v20 :: v_dual_mov_b32 v18, v21
	v_lshlrev_b64_e32 v[10:11], 4, v[10:11]
	s_delay_alu instid0(VALU_DEP_2) | instskip(NEXT) | instid1(VALU_DEP_4)
	v_mad_co_u64_u32 v[0:1], null, s9, v16, v[1:2]
	v_mov_b32_e32 v1, v23
	s_delay_alu instid0(VALU_DEP_4) | instskip(NEXT) | instid1(VALU_DEP_4)
	v_lshlrev_b64_e32 v[16:17], 4, v[17:18]
	v_add_co_u32 v10, s0, v25, v10
	s_wait_alu 0xf1ff
	v_add_co_ci_u32_e64 v11, s0, v26, v11, s0
	v_add_co_u32 v12, s0, v25, v12
	v_mad_co_u64_u32 v[23:24], null, s9, v24, v[1:2]
	v_mov_b32_e32 v20, v0
	s_wait_alu 0xf1ff
	v_add_co_ci_u32_e64 v13, s0, v26, v13, s0
	v_add_co_u32 v0, s0, v25, v14
	s_wait_alu 0xf1ff
	v_add_co_ci_u32_e64 v1, s0, v26, v15, s0
	v_lshlrev_b64_e32 v[14:15], 4, v[19:20]
	v_add_co_u32 v16, s0, v25, v16
	v_lshlrev_b64_e32 v[18:19], 4, v[22:23]
	s_wait_alu 0xf1ff
	v_add_co_ci_u32_e64 v17, s0, v26, v17, s0
	s_delay_alu instid0(VALU_DEP_4)
	v_add_co_u32 v20, s0, v25, v14
	s_wait_alu 0xf1ff
	v_add_co_ci_u32_e64 v21, s0, v26, v15, s0
	v_add_co_u32 v24, s0, v25, v18
	s_wait_alu 0xf1ff
	v_add_co_ci_u32_e64 v25, s0, v26, v19, s0
	s_clause 0x5
	global_load_b128 v[26:29], v[10:11], off
	global_load_b128 v[30:33], v[12:13], off
	;; [unrolled: 1-line block ×6, first 2 shown]
.LBB0_13:
	s_or_b32 exec_lo, exec_lo, s1
	s_wait_loadcnt 0x5
	v_add_f64_e64 v[24:25], v[6:7], -v[26:27]
	s_wait_loadcnt 0x4
	v_add_f64_e64 v[40:41], v[2:3], -v[30:31]
	;; [unrolled: 2-line block ×4, first 2 shown]
	v_add_f64_e64 v[44:45], v[4:5], -v[32:33]
	v_add_f64_e64 v[42:43], v[18:19], -v[36:37]
	v_mul_i32_i24_e32 v46, 0xffffffe8, v57
	v_cmp_gt_u32_e64 s0, 0x60, v53
	v_lshl_add_u32 v59, v61, 3, 0
	v_fma_f64 v[6:7], v[6:7], 2.0, -v[24:25]
	v_fma_f64 v[0:1], v[2:3], 2.0, -v[40:41]
	;; [unrolled: 1-line block ×4, first 2 shown]
	v_add_f64_e64 v[12:13], v[24:25], -v[44:45]
	v_add_f64_e64 v[2:3], v[30:31], -v[42:43]
	;; [unrolled: 1-line block ×3, first 2 shown]
	s_delay_alu instid0(VALU_DEP_4) | instskip(NEXT) | instid1(VALU_DEP_4)
	v_add_f64_e64 v[0:1], v[34:35], -v[16:17]
	v_fma_f64 v[26:27], v[24:25], 2.0, -v[12:13]
	s_delay_alu instid0(VALU_DEP_4) | instskip(SKIP_3) | instid1(VALU_DEP_3)
	v_fma_f64 v[32:33], v[30:31], 2.0, -v[2:3]
	v_lshl_add_u32 v16, v53, 5, 0
	v_lshl_add_u32 v17, v57, 5, 0
	v_fma_f64 v[24:25], v[6:7], 2.0, -v[10:11]
	v_mad_i32_i24 v6, 0xffffffe8, v53, v16
	v_fma_f64 v[30:31], v[34:35], 2.0, -v[0:1]
	s_delay_alu instid0(VALU_DEP_4)
	v_mad_i32_i24 v7, 0xffffffe8, v57, v17
	ds_store_b128 v16, v[24:27]
	ds_store_b128 v16, v[10:13] offset:16
	ds_store_b128 v17, v[30:33]
	ds_store_b128 v17, v[0:3] offset:16
	v_add_nc_u32_e32 v34, 0x1080, v6
	global_wb scope:SCOPE_SE
	s_wait_dscnt 0x0
	s_barrier_signal -1
	s_barrier_wait -1
	global_inv scope:SCOPE_SE
	ds_load_2addr_stride64_b64 v[10:13], v6 offset1:6
	ds_load_2addr_b64 v[24:27], v34 offset1:240
	ds_load_b64 v[34:35], v7
	ds_load_b64 v[36:37], v6 offset:7296
	v_mul_i32_i24_e32 v6, 0xffffffe8, v53
                                        ; implicit-def: $vgpr32_vgpr33
	s_delay_alu instid0(VALU_DEP_1)
	v_add_nc_u32_e32 v58, v16, v6
	s_and_saveexec_b32 s1, s0
	s_cbranch_execz .LBB0_15
; %bb.14:
	s_delay_alu instid0(VALU_DEP_1)
	v_add_nc_u32_e32 v0, 0x100, v58
	ds_load_2addr_stride64_b64 v[30:33], v0 offset0:10 offset1:16
	ds_load_b64 v[0:1], v59
	s_wait_dscnt 0x1
	v_dual_mov_b32 v2, v30 :: v_dual_mov_b32 v3, v31
.LBB0_15:
	s_wait_alu 0xfffe
	s_or_b32 exec_lo, exec_lo, s1
	v_add_f64_e64 v[47:48], v[8:9], -v[28:29]
	v_add_f64_e64 v[22:23], v[14:15], -v[22:23]
	v_fma_f64 v[4:5], v[4:5], 2.0, -v[44:45]
	v_fma_f64 v[18:19], v[18:19], 2.0, -v[42:43]
	v_add_nc_u32_e32 v60, v17, v46
	global_wb scope:SCOPE_SE
	s_wait_dscnt 0x0
	s_barrier_signal -1
	s_barrier_wait -1
	global_inv scope:SCOPE_SE
	v_fma_f64 v[8:9], v[8:9], 2.0, -v[47:48]
	v_fma_f64 v[14:15], v[14:15], 2.0, -v[22:23]
	v_add_f64_e32 v[30:31], v[40:41], v[47:48]
	v_add_f64_e32 v[6:7], v[22:23], v[20:21]
	s_delay_alu instid0(VALU_DEP_4) | instskip(NEXT) | instid1(VALU_DEP_4)
	v_add_f64_e64 v[28:29], v[8:9], -v[4:5]
	v_add_f64_e64 v[4:5], v[14:15], -v[18:19]
	s_delay_alu instid0(VALU_DEP_4) | instskip(NEXT) | instid1(VALU_DEP_4)
	v_fma_f64 v[20:21], v[47:48], 2.0, -v[30:31]
	v_fma_f64 v[42:43], v[22:23], 2.0, -v[6:7]
	s_delay_alu instid0(VALU_DEP_4) | instskip(NEXT) | instid1(VALU_DEP_4)
	v_fma_f64 v[18:19], v[8:9], 2.0, -v[28:29]
	v_fma_f64 v[40:41], v[14:15], 2.0, -v[4:5]
	v_add_nc_u32_e32 v8, 0x1080, v58
	ds_store_b128 v16, v[18:21]
	ds_store_b128 v16, v[28:31] offset:16
	ds_store_b128 v17, v[40:43]
	ds_store_b128 v17, v[4:7] offset:16
	global_wb scope:SCOPE_SE
	s_wait_dscnt 0x0
	s_barrier_signal -1
	s_barrier_wait -1
	global_inv scope:SCOPE_SE
	ds_load_2addr_stride64_b64 v[14:17], v58 offset1:6
	ds_load_2addr_b64 v[18:21], v8 offset1:240
	ds_load_b64 v[22:23], v60
	ds_load_b64 v[44:45], v58 offset:7296
                                        ; implicit-def: $vgpr8_vgpr9
	s_and_saveexec_b32 s1, s0
	s_cbranch_execz .LBB0_17
; %bb.16:
	v_add_nc_u32_e32 v4, 0x100, v58
	ds_load_2addr_stride64_b64 v[6:9], v4 offset0:10 offset1:16
	ds_load_b64 v[4:5], v59
.LBB0_17:
	s_wait_alu 0xfffe
	s_or_b32 exec_lo, exec_lo, s1
	v_and_b32_e32 v46, 3, v53
	s_mov_b32 s2, 0xe8584caa
	s_mov_b32 s3, 0x3febb67a
	;; [unrolled: 1-line block ×3, first 2 shown]
	s_wait_alu 0xfffe
	s_mov_b32 s6, s2
	v_lshlrev_b32_e32 v28, 5, v46
	s_clause 0x1
	global_load_b128 v[47:50], v28, s[4:5]
	global_load_b128 v[62:65], v28, s[4:5] offset:16
	global_wb scope:SCOPE_SE
	s_wait_loadcnt_dscnt 0x0
	s_barrier_signal -1
	s_barrier_wait -1
	global_inv scope:SCOPE_SE
	v_mul_f64_e32 v[28:29], v[16:17], v[49:50]
	v_mul_f64_e32 v[30:31], v[20:21], v[64:65]
	;; [unrolled: 1-line block ×12, first 2 shown]
	v_fma_f64 v[28:29], v[12:13], v[47:48], -v[28:29]
	v_fma_f64 v[40:41], v[26:27], v[62:63], -v[30:31]
	;; [unrolled: 1-line block ×6, first 2 shown]
	v_fma_f64 v[36:37], v[16:17], v[47:48], v[72:73]
	v_fma_f64 v[20:21], v[20:21], v[62:63], v[74:75]
	;; [unrolled: 1-line block ×6, first 2 shown]
	v_add_f64_e32 v[47:48], v[10:11], v[28:29]
	v_add_f64_e32 v[2:3], v[28:29], v[40:41]
	v_add_f64_e32 v[62:63], v[34:35], v[24:25]
	v_add_f64_e32 v[6:7], v[24:25], v[30:31]
	v_add_f64_e32 v[44:45], v[12:13], v[26:27]
	v_add_f64_e64 v[49:50], v[36:37], -v[20:21]
	v_add_f64_e64 v[8:9], v[16:17], -v[18:19]
	v_add_f64_e32 v[47:48], v[47:48], v[40:41]
	v_fma_f64 v[2:3], v[2:3], -0.5, v[10:11]
	v_add_f64_e64 v[10:11], v[42:43], -v[32:33]
	v_fma_f64 v[34:35], v[6:7], -0.5, v[34:35]
	v_add_f64_e32 v[62:63], v[62:63], v[30:31]
	v_fma_f64 v[6:7], v[44:45], -0.5, v[0:1]
	v_fma_f64 v[64:65], v[49:50], s[2:3], v[2:3]
	s_wait_alu 0xfffe
	v_fma_f64 v[49:50], v[49:50], s[6:7], v[2:3]
	v_fma_f64 v[66:67], v[10:11], s[2:3], v[34:35]
	;; [unrolled: 1-line block ×4, first 2 shown]
	v_lshrrev_b32_e32 v34, 2, v57
	v_lshrrev_b32_e32 v35, 2, v53
	s_delay_alu instid0(VALU_DEP_2) | instskip(NEXT) | instid1(VALU_DEP_2)
	v_mul_lo_u32 v34, v34, 12
	v_mul_u32_u24_e32 v35, 12, v35
	s_delay_alu instid0(VALU_DEP_1) | instskip(NEXT) | instid1(VALU_DEP_3)
	v_or_b32_e32 v35, v35, v46
	v_or_b32_e32 v44, v34, v46
	v_lshrrev_b32_e32 v34, 2, v61
	s_delay_alu instid0(VALU_DEP_3) | instskip(NEXT) | instid1(VALU_DEP_3)
	v_lshl_add_u32 v35, v35, 3, 0
	v_lshl_add_u32 v44, v44, 3, 0
	ds_store_2addr_b64 v35, v[47:48], v[64:65] offset1:4
	ds_store_b64 v35, v[49:50] offset:64
	ds_store_2addr_b64 v44, v[62:63], v[66:67] offset1:4
	ds_store_b64 v44, v[10:11] offset:64
	s_and_saveexec_b32 s1, s0
	s_cbranch_execz .LBB0_19
; %bb.18:
	v_mul_f64_e32 v[8:9], s[2:3], v[8:9]
	v_add_f64_e32 v[0:1], v[0:1], v[12:13]
	s_delay_alu instid0(VALU_DEP_2) | instskip(NEXT) | instid1(VALU_DEP_2)
	v_add_f64_e32 v[6:7], v[8:9], v[6:7]
	v_add_f64_e32 v[0:1], v[0:1], v[26:27]
	v_mul_lo_u32 v8, v34, 12
	s_delay_alu instid0(VALU_DEP_1) | instskip(NEXT) | instid1(VALU_DEP_1)
	v_or_b32_e32 v8, v8, v46
	v_lshl_add_u32 v8, v8, 3, 0
	ds_store_2addr_b64 v8, v[0:1], v[6:7] offset1:4
	ds_store_b64 v8, v[2:3] offset:64
.LBB0_19:
	s_wait_alu 0xfffe
	s_or_b32 exec_lo, exec_lo, s1
	v_add_f64_e32 v[0:1], v[36:37], v[20:21]
	v_add_f64_e32 v[6:7], v[42:43], v[32:33]
	;; [unrolled: 1-line block ×4, first 2 shown]
	v_add_f64_e64 v[28:29], v[28:29], -v[40:41]
	v_add_f64_e32 v[36:37], v[22:23], v[42:43]
	global_wb scope:SCOPE_SE
	s_wait_dscnt 0x0
	s_barrier_signal -1
	s_barrier_wait -1
	global_inv scope:SCOPE_SE
	v_fma_f64 v[0:1], v[0:1], -0.5, v[14:15]
	v_add_f64_e64 v[14:15], v[24:25], -v[30:31]
	v_fma_f64 v[6:7], v[6:7], -0.5, v[22:23]
	v_add_f64_e64 v[24:25], v[12:13], -v[26:27]
	v_fma_f64 v[22:23], v[8:9], -0.5, v[4:5]
	v_add_f64_e32 v[40:41], v[10:11], v[20:21]
	v_add_f64_e32 v[32:33], v[36:37], v[32:33]
	v_add_nc_u32_e32 v30, 0xc00, v58
	v_add_nc_u32_e32 v31, 0x1400, v58
	v_fma_f64 v[36:37], v[28:29], s[6:7], v[0:1]
	v_fma_f64 v[42:43], v[28:29], s[2:3], v[0:1]
	;; [unrolled: 1-line block ×5, first 2 shown]
	ds_load_b64 v[26:27], v59
	ds_load_b64 v[20:21], v58 offset:8064
	ds_load_b64 v[0:1], v58
	ds_load_b64 v[28:29], v60
	ds_load_2addr_b64 v[8:11], v30 offset0:48 offset1:192
	ds_load_2addr_b64 v[12:15], v31 offset0:80 offset1:224
	global_wb scope:SCOPE_SE
	s_wait_dscnt 0x0
	s_barrier_signal -1
	s_barrier_wait -1
	global_inv scope:SCOPE_SE
	ds_store_2addr_b64 v35, v[40:41], v[36:37] offset1:4
	ds_store_b64 v35, v[42:43] offset:64
	ds_store_2addr_b64 v44, v[32:33], v[47:48] offset1:4
	ds_store_b64 v44, v[49:50] offset:64
	s_and_saveexec_b32 s1, s0
	s_cbranch_execz .LBB0_21
; %bb.20:
	v_add_f64_e32 v[4:5], v[4:5], v[16:17]
	v_mul_f64_e32 v[16:17], s[2:3], v[24:25]
	s_delay_alu instid0(VALU_DEP_2) | instskip(NEXT) | instid1(VALU_DEP_2)
	v_add_f64_e32 v[4:5], v[4:5], v[18:19]
	v_add_f64_e64 v[16:17], v[22:23], -v[16:17]
	v_mul_lo_u32 v18, v34, 12
	s_delay_alu instid0(VALU_DEP_1) | instskip(NEXT) | instid1(VALU_DEP_1)
	v_or_b32_e32 v18, v18, v46
	v_lshl_add_u32 v18, v18, 3, 0
	ds_store_2addr_b64 v18, v[4:5], v[16:17] offset1:4
	ds_store_b64 v18, v[6:7] offset:64
.LBB0_21:
	s_wait_alu 0xfffe
	s_or_b32 exec_lo, exec_lo, s1
	v_and_b32_e32 v4, 0xff, v53
	global_wb scope:SCOPE_SE
	s_wait_dscnt 0x0
	s_barrier_signal -1
	s_barrier_wait -1
	global_inv scope:SCOPE_SE
	v_mul_lo_u16 v4, 0xab, v4
	s_mov_b32 s2, 0x667f3bcd
	s_mov_b32 s3, 0x3fe6a09e
	;; [unrolled: 1-line block ×3, first 2 shown]
	s_wait_alu 0xfffe
	s_mov_b32 s6, s2
	v_lshrrev_b16 v88, 11, v4
	s_delay_alu instid0(VALU_DEP_1) | instskip(NEXT) | instid1(VALU_DEP_1)
	v_mul_lo_u16 v4, v88, 12
	v_sub_nc_u16 v4, v53, v4
	s_delay_alu instid0(VALU_DEP_1) | instskip(NEXT) | instid1(VALU_DEP_1)
	v_and_b32_e32 v89, 0xff, v4
	v_mul_u32_u24_e32 v4, 7, v89
	s_delay_alu instid0(VALU_DEP_1)
	v_lshlrev_b32_e32 v4, 4, v4
	s_clause 0x6
	global_load_b128 v[32:35], v4, s[4:5] offset:128
	global_load_b128 v[40:43], v4, s[4:5] offset:144
	;; [unrolled: 1-line block ×7, first 2 shown]
	ds_load_b64 v[36:37], v60
	ds_load_b64 v[4:5], v59
	ds_load_2addr_b64 v[22:25], v30 offset0:48 offset1:192
	ds_load_2addr_b64 v[70:73], v31 offset0:80 offset1:224
	ds_load_b64 v[30:31], v58 offset:8064
	s_wait_loadcnt_dscnt 0x604
	v_mul_f64_e32 v[74:75], v[36:37], v[34:35]
	s_wait_loadcnt_dscnt 0x503
	v_mul_f64_e32 v[76:77], v[4:5], v[42:43]
	v_mul_f64_e32 v[42:43], v[26:27], v[42:43]
	s_wait_loadcnt_dscnt 0x402
	v_mul_f64_e32 v[78:79], v[22:23], v[46:47]
	v_mul_f64_e32 v[46:47], v[8:9], v[46:47]
	s_wait_loadcnt 0x3
	v_mul_f64_e32 v[80:81], v[24:25], v[18:19]
	s_wait_loadcnt_dscnt 0x201
	v_mul_f64_e32 v[82:83], v[72:73], v[50:51]
	s_wait_loadcnt 0x1
	v_mul_f64_e32 v[84:85], v[70:71], v[64:65]
	v_mul_f64_e32 v[50:51], v[14:15], v[50:51]
	s_wait_loadcnt_dscnt 0x0
	v_mul_f64_e32 v[86:87], v[30:31], v[68:69]
	v_mul_f64_e32 v[68:69], v[20:21], v[68:69]
	;; [unrolled: 1-line block ×3, first 2 shown]
	v_fma_f64 v[74:75], v[28:29], v[32:33], -v[74:75]
	v_mul_f64_e32 v[28:29], v[12:13], v[64:65]
	v_fma_f64 v[26:27], v[26:27], v[40:41], -v[76:77]
	v_fma_f64 v[4:5], v[4:5], v[40:41], v[42:43]
	v_fma_f64 v[40:41], v[8:9], v[44:45], -v[78:79]
	v_fma_f64 v[22:23], v[22:23], v[44:45], v[46:47]
	v_fma_f64 v[8:9], v[10:11], v[16:17], -v[80:81]
	v_fma_f64 v[14:15], v[14:15], v[48:49], -v[82:83]
	;; [unrolled: 1-line block ×3, first 2 shown]
	v_fma_f64 v[42:43], v[72:73], v[48:49], v[50:51]
	v_fma_f64 v[20:21], v[20:21], v[66:67], -v[86:87]
	v_fma_f64 v[30:31], v[30:31], v[66:67], v[68:69]
	v_fma_f64 v[32:33], v[36:37], v[32:33], v[34:35]
	;; [unrolled: 1-line block ×3, first 2 shown]
	v_add_nc_u32_e32 v62, 0x1080, v58
	v_add_f64_e64 v[44:45], v[0:1], -v[8:9]
	v_add_f64_e64 v[8:9], v[26:27], -v[14:15]
	;; [unrolled: 1-line block ×7, first 2 shown]
	v_fma_f64 v[0:1], v[0:1], 2.0, -v[44:45]
	v_fma_f64 v[26:27], v[26:27], 2.0, -v[8:9]
	;; [unrolled: 1-line block ×3, first 2 shown]
	v_add_f64_e64 v[46:47], v[44:45], -v[28:29]
	v_fma_f64 v[34:35], v[40:41], 2.0, -v[14:15]
	v_add_f64_e64 v[48:49], v[12:13], -v[20:21]
	v_fma_f64 v[20:21], v[22:23], 2.0, -v[20:21]
	v_fma_f64 v[36:37], v[32:33], 2.0, -v[30:31]
	v_add_f64_e32 v[14:15], v[30:31], v[14:15]
	v_add_f64_e64 v[22:23], v[0:1], -v[26:27]
	v_fma_f64 v[32:33], v[44:45], 2.0, -v[46:47]
	v_add_f64_e64 v[34:35], v[42:43], -v[34:35]
	v_fma_f64 v[12:13], v[12:13], 2.0, -v[48:49]
	;; [unrolled: 2-line block ×3, first 2 shown]
	v_fma_f64 v[30:31], v[48:49], s[2:3], v[46:47]
	v_fma_f64 v[44:45], v[0:1], 2.0, -v[22:23]
	v_fma_f64 v[42:43], v[42:43], 2.0, -v[34:35]
	s_wait_alu 0xfffe
	v_fma_f64 v[50:51], v[12:13], s[6:7], v[32:33]
	v_add_f64_e64 v[26:27], v[22:23], -v[40:41]
	v_fma_f64 v[0:1], v[14:15], s[6:7], v[30:31]
	s_delay_alu instid0(VALU_DEP_4) | instskip(NEXT) | instid1(VALU_DEP_4)
	v_add_f64_e64 v[30:31], v[44:45], -v[42:43]
	v_fma_f64 v[64:65], v[20:21], s[6:7], v[50:51]
	v_and_b32_e32 v42, 0xffff, v88
	ds_load_b64 v[50:51], v58
	global_wb scope:SCOPE_SE
	s_wait_dscnt 0x0
	s_barrier_signal -1
	s_barrier_wait -1
	v_mul_u32_u24_e32 v42, 0x60, v42
	global_inv scope:SCOPE_SE
	v_or_b32_e32 v63, v42, v89
	v_mul_f64_e32 v[42:43], s[2:3], v[12:13]
	s_delay_alu instid0(VALU_DEP_2)
	v_lshl_add_u32 v63, v63, 3, 0
	v_fma_f64 v[22:23], v[22:23], 2.0, -v[26:27]
	v_fma_f64 v[66:67], v[46:47], 2.0, -v[0:1]
	v_mul_f64_e32 v[46:47], s[2:3], v[20:21]
	v_fma_f64 v[68:69], v[44:45], 2.0, -v[30:31]
	v_fma_f64 v[32:33], v[32:33], 2.0, -v[64:65]
	v_mul_f64_e32 v[44:45], s[2:3], v[48:49]
	v_mul_f64_e32 v[48:49], s[2:3], v[14:15]
	ds_store_2addr_b64 v63, v[26:27], v[0:1] offset0:72 offset1:84
	ds_store_2addr_b64 v63, v[22:23], v[66:67] offset0:24 offset1:36
	;; [unrolled: 1-line block ×3, first 2 shown]
	ds_store_2addr_b64 v63, v[68:69], v[32:33] offset1:12
	global_wb scope:SCOPE_SE
	s_wait_dscnt 0x0
	s_barrier_signal -1
	s_barrier_wait -1
	global_inv scope:SCOPE_SE
	ds_load_2addr_stride64_b64 v[12:15], v58 offset1:6
	ds_load_2addr_b64 v[20:23], v62 offset1:240
	ds_load_b64 v[30:31], v60
	ds_load_b64 v[32:33], v58 offset:7296
	s_and_saveexec_b32 s1, s0
	s_cbranch_execz .LBB0_23
; %bb.22:
	v_add_nc_u32_e32 v0, 0x100, v58
	ds_load_b64 v[26:27], v59
	ds_load_2addr_stride64_b64 v[0:3], v0 offset0:10 offset1:16
.LBB0_23:
	s_wait_alu 0xfffe
	s_or_b32 exec_lo, exec_lo, s1
	v_mul_f64_e32 v[10:11], v[10:11], v[18:19]
	v_fma_f64 v[4:5], v[4:5], 2.0, -v[28:29]
	v_fma_f64 v[28:29], v[36:37], 2.0, -v[40:41]
	global_wb scope:SCOPE_SE
	s_wait_dscnt 0x0
	s_barrier_signal -1
	s_barrier_wait -1
	global_inv scope:SCOPE_SE
	v_fma_f64 v[10:11], v[24:25], v[16:17], v[10:11]
	s_delay_alu instid0(VALU_DEP_1) | instskip(NEXT) | instid1(VALU_DEP_1)
	v_add_f64_e64 v[10:11], v[50:51], -v[10:11]
	v_fma_f64 v[16:17], v[50:51], 2.0, -v[10:11]
	v_add_f64_e32 v[8:9], v[10:11], v[8:9]
	s_delay_alu instid0(VALU_DEP_2) | instskip(NEXT) | instid1(VALU_DEP_2)
	v_add_f64_e64 v[18:19], v[16:17], -v[4:5]
	v_fma_f64 v[10:11], v[10:11], 2.0, -v[8:9]
	v_add_f64_e32 v[4:5], v[8:9], v[48:49]
	s_delay_alu instid0(VALU_DEP_3) | instskip(NEXT) | instid1(VALU_DEP_3)
	v_fma_f64 v[16:17], v[16:17], 2.0, -v[18:19]
	v_add_f64_e64 v[36:37], v[10:11], -v[46:47]
	v_add_f64_e32 v[24:25], v[18:19], v[34:35]
	s_delay_alu instid0(VALU_DEP_4) | instskip(NEXT) | instid1(VALU_DEP_4)
	v_add_f64_e32 v[4:5], v[44:45], v[4:5]
	v_add_f64_e64 v[28:29], v[16:17], -v[28:29]
	s_delay_alu instid0(VALU_DEP_4) | instskip(NEXT) | instid1(VALU_DEP_4)
	v_add_f64_e32 v[34:35], v[42:43], v[36:37]
	v_fma_f64 v[18:19], v[18:19], 2.0, -v[24:25]
	s_delay_alu instid0(VALU_DEP_4) | instskip(NEXT) | instid1(VALU_DEP_4)
	v_fma_f64 v[8:9], v[8:9], 2.0, -v[4:5]
	v_fma_f64 v[16:17], v[16:17], 2.0, -v[28:29]
	s_delay_alu instid0(VALU_DEP_4)
	v_fma_f64 v[10:11], v[10:11], 2.0, -v[34:35]
	ds_store_2addr_b64 v63, v[24:25], v[4:5] offset0:72 offset1:84
	ds_store_2addr_b64 v63, v[18:19], v[8:9] offset0:24 offset1:36
	;; [unrolled: 1-line block ×3, first 2 shown]
	ds_store_2addr_b64 v63, v[16:17], v[10:11] offset1:12
	global_wb scope:SCOPE_SE
	s_wait_dscnt 0x0
	s_barrier_signal -1
	s_barrier_wait -1
	global_inv scope:SCOPE_SE
	ds_load_2addr_stride64_b64 v[8:11], v58 offset1:6
	ds_load_2addr_b64 v[16:19], v62 offset1:240
	ds_load_b64 v[28:29], v60
	ds_load_b64 v[34:35], v58 offset:7296
	s_and_saveexec_b32 s1, s0
	s_cbranch_execz .LBB0_25
; %bb.24:
	v_add_nc_u32_e32 v4, 0x100, v58
	ds_load_b64 v[24:25], v59
	ds_load_2addr_stride64_b64 v[4:7], v4 offset0:10 offset1:16
.LBB0_25:
	s_wait_alu 0xfffe
	s_or_b32 exec_lo, exec_lo, s1
	v_and_b32_e32 v36, 0xffff, v57
	v_add_nc_u32_e32 v37, 0xffffffa0, v53
	s_mov_b32 s2, 0xe8584caa
	s_mov_b32 s3, 0x3febb67a
	;; [unrolled: 1-line block ×3, first 2 shown]
	s_wait_alu 0xfffe
	s_mov_b32 s6, s2
	v_cndmask_b32_e64 v81, v37, v53, s0
	v_mov_b32_e32 v37, 0
	v_mul_u32_u24_e32 v36, 0xaaab, v36
	s_delay_alu instid0(VALU_DEP_1) | instskip(NEXT) | instid1(VALU_DEP_4)
	v_lshrrev_b32_e32 v80, 22, v36
	v_lshlrev_b32_e32 v36, 1, v81
	s_delay_alu instid0(VALU_DEP_2) | instskip(NEXT) | instid1(VALU_DEP_2)
	v_mul_lo_u16 v40, 0x60, v80
	v_lshlrev_b64_e32 v[36:37], 4, v[36:37]
	s_delay_alu instid0(VALU_DEP_2) | instskip(NEXT) | instid1(VALU_DEP_2)
	v_sub_nc_u16 v40, v57, v40
	v_add_co_u32 v36, s1, s4, v36
	s_wait_alu 0xf1ff
	s_delay_alu instid0(VALU_DEP_3) | instskip(NEXT) | instid1(VALU_DEP_3)
	v_add_co_ci_u32_e64 v37, s1, s5, v37, s1
	v_and_b32_e32 v82, 0xffff, v40
	v_cmp_lt_u32_e64 s1, 0x5f, v53
	s_delay_alu instid0(VALU_DEP_2)
	v_lshlrev_b32_e32 v62, 5, v82
	s_clause 0x3
	global_load_b128 v[40:43], v[36:37], off offset:1472
	global_load_b128 v[44:47], v[36:37], off offset:1488
	global_load_b128 v[48:51], v62, s[4:5] offset:1472
	global_load_b128 v[62:65], v62, s[4:5] offset:1488
	v_and_b32_e32 v36, 0xffff, v61
	s_delay_alu instid0(VALU_DEP_1) | instskip(NEXT) | instid1(VALU_DEP_1)
	v_mul_u32_u24_e32 v36, 0xaaab, v36
	v_lshrrev_b32_e32 v36, 22, v36
	s_delay_alu instid0(VALU_DEP_1) | instskip(NEXT) | instid1(VALU_DEP_1)
	v_mul_lo_u16 v36, 0x60, v36
	v_sub_nc_u16 v36, v61, v36
	s_delay_alu instid0(VALU_DEP_1) | instskip(NEXT) | instid1(VALU_DEP_1)
	v_and_b32_e32 v83, 0xffff, v36
	v_lshlrev_b32_e32 v36, 5, v83
	s_clause 0x1
	global_load_b128 v[66:69], v36, s[4:5] offset:1472
	global_load_b128 v[70:73], v36, s[4:5] offset:1488
	global_wb scope:SCOPE_SE
	s_wait_loadcnt_dscnt 0x0
	s_barrier_signal -1
	s_barrier_wait -1
	global_inv scope:SCOPE_SE
	v_mul_f64_e32 v[36:37], v[10:11], v[42:43]
	v_mul_f64_e32 v[74:75], v[18:19], v[46:47]
	;; [unrolled: 1-line block ×8, first 2 shown]
	v_fma_f64 v[36:37], v[14:15], v[40:41], -v[36:37]
	v_fma_f64 v[22:23], v[22:23], v[44:45], -v[74:75]
	;; [unrolled: 1-line block ×4, first 2 shown]
	v_fma_f64 v[32:33], v[10:11], v[40:41], v[42:43]
	v_fma_f64 v[10:11], v[18:19], v[44:45], v[46:47]
	v_fma_f64 v[16:17], v[16:17], v[48:49], v[50:51]
	v_fma_f64 v[42:43], v[34:35], v[62:63], v[64:65]
	v_mul_f64_e32 v[40:41], v[4:5], v[68:69]
	v_mul_f64_e32 v[44:45], v[0:1], v[68:69]
	;; [unrolled: 1-line block ×4, first 2 shown]
	v_add_f64_e32 v[48:49], v[12:13], v[36:37]
	v_add_f64_e32 v[18:19], v[36:37], v[22:23]
	;; [unrolled: 1-line block ×4, first 2 shown]
	v_add_f64_e64 v[50:51], v[32:33], -v[10:11]
	v_add_f64_e64 v[63:64], v[16:17], -v[42:43]
	v_fma_f64 v[12:13], v[18:19], -0.5, v[12:13]
	v_fma_f64 v[18:19], v[4:5], v[66:67], v[44:45]
	v_fma_f64 v[34:35], v[34:35], -0.5, v[30:31]
	v_fma_f64 v[30:31], v[0:1], v[66:67], -v[40:41]
	v_fma_f64 v[40:41], v[2:3], v[70:71], -v[46:47]
	v_add_f64_e32 v[0:1], v[48:49], v[22:23]
	v_add_f64_e32 v[2:3], v[61:62], v[20:21]
	v_mul_u32_u24_e32 v46, 0x900, v80
	v_lshl_add_u32 v44, v83, 3, 0
	v_fma_f64 v[4:5], v[50:51], s[2:3], v[12:13]
	s_wait_alu 0xfffe
	v_fma_f64 v[12:13], v[50:51], s[6:7], v[12:13]
	v_fma_f64 v[47:48], v[63:64], s[2:3], v[34:35]
	;; [unrolled: 1-line block ×4, first 2 shown]
	s_wait_alu 0xf1ff
	v_cndmask_b32_e64 v6, 0, 0x900, s1
	v_lshlrev_b32_e32 v7, 3, v81
	v_lshlrev_b32_e32 v51, 3, v82
	s_delay_alu instid0(VALU_DEP_2) | instskip(NEXT) | instid1(VALU_DEP_2)
	v_add3_u32 v45, 0, v6, v7
	v_add3_u32 v46, 0, v46, v51
	ds_store_2addr_b64 v45, v[0:1], v[4:5] offset1:96
	ds_store_b64 v45, v[12:13] offset:1536
	ds_store_2addr_b64 v46, v[2:3], v[47:48] offset1:96
	ds_store_b64 v46, v[49:50] offset:1536
	s_and_saveexec_b32 s1, s0
	s_cbranch_execz .LBB0_27
; %bb.26:
	v_add_f64_e32 v[0:1], v[30:31], v[40:41]
	v_add_f64_e64 v[2:3], v[18:19], -v[34:35]
	v_add_f64_e32 v[4:5], v[26:27], v[30:31]
	s_delay_alu instid0(VALU_DEP_3) | instskip(NEXT) | instid1(VALU_DEP_2)
	v_fma_f64 v[0:1], v[0:1], -0.5, v[26:27]
	v_add_f64_e32 v[4:5], v[4:5], v[40:41]
	s_delay_alu instid0(VALU_DEP_2)
	v_fma_f64 v[6:7], v[2:3], s[2:3], v[0:1]
	v_fma_f64 v[0:1], v[2:3], s[6:7], v[0:1]
	v_add_nc_u32_e32 v2, 0x1800, v44
	ds_store_2addr_b64 v2, v[4:5], v[6:7] offset0:96 offset1:192
	ds_store_b64 v44, v[0:1] offset:8448
.LBB0_27:
	s_wait_alu 0xfffe
	s_or_b32 exec_lo, exec_lo, s1
	v_add_f64_e32 v[0:1], v[32:33], v[10:11]
	v_add_f64_e32 v[2:3], v[16:17], v[42:43]
	;; [unrolled: 1-line block ×3, first 2 shown]
	v_add_f64_e64 v[6:7], v[36:37], -v[22:23]
	v_add_f64_e32 v[12:13], v[28:29], v[16:17]
	global_wb scope:SCOPE_SE
	s_wait_dscnt 0x0
	s_barrier_signal -1
	s_barrier_wait -1
	global_inv scope:SCOPE_SE
	v_fma_f64 v[0:1], v[0:1], -0.5, v[8:9]
	v_add_f64_e64 v[8:9], v[14:15], -v[20:21]
	v_fma_f64 v[2:3], v[2:3], -0.5, v[28:29]
	v_add_f64_e32 v[16:17], v[4:5], v[10:11]
	v_add_f64_e32 v[20:21], v[12:13], v[42:43]
	v_fma_f64 v[22:23], v[6:7], s[6:7], v[0:1]
	v_fma_f64 v[26:27], v[6:7], s[2:3], v[0:1]
	;; [unrolled: 1-line block ×4, first 2 shown]
	v_add_nc_u32_e32 v0, 0xc00, v58
	v_add_nc_u32_e32 v1, 0x1400, v58
	ds_load_b64 v[12:13], v59
	ds_load_b64 v[14:15], v58 offset:8064
	ds_load_b64 v[10:11], v58
	ds_load_b64 v[8:9], v60
	ds_load_2addr_b64 v[4:7], v0 offset0:48 offset1:192
	ds_load_2addr_b64 v[0:3], v1 offset0:80 offset1:224
	global_wb scope:SCOPE_SE
	s_wait_dscnt 0x0
	s_barrier_signal -1
	s_barrier_wait -1
	global_inv scope:SCOPE_SE
	ds_store_2addr_b64 v45, v[16:17], v[22:23] offset1:96
	ds_store_b64 v45, v[26:27] offset:1536
	ds_store_2addr_b64 v46, v[20:21], v[28:29] offset1:96
	ds_store_b64 v46, v[32:33] offset:1536
	s_and_saveexec_b32 s1, s0
	s_cbranch_execz .LBB0_29
; %bb.28:
	v_add_f64_e32 v[16:17], v[18:19], v[34:35]
	v_add_f64_e64 v[20:21], v[30:31], -v[40:41]
	v_add_f64_e32 v[18:19], v[24:25], v[18:19]
	s_mov_b32 s3, 0xbfebb67a
	s_mov_b32 s2, 0xe8584caa
	s_delay_alu instid0(VALU_DEP_3) | instskip(NEXT) | instid1(VALU_DEP_2)
	v_fma_f64 v[16:17], v[16:17], -0.5, v[24:25]
	v_add_f64_e32 v[18:19], v[18:19], v[34:35]
	s_wait_alu 0xfffe
	s_delay_alu instid0(VALU_DEP_2)
	v_fma_f64 v[22:23], v[20:21], s[2:3], v[16:17]
	s_mov_b32 s3, 0x3febb67a
	s_wait_alu 0xfffe
	v_fma_f64 v[16:17], v[20:21], s[2:3], v[16:17]
	v_add_nc_u32_e32 v20, 0x1800, v44
	ds_store_2addr_b64 v20, v[18:19], v[22:23] offset0:96 offset1:192
	ds_store_b64 v44, v[16:17] offset:8448
.LBB0_29:
	s_wait_alu 0xfffe
	s_or_b32 exec_lo, exec_lo, s1
	global_wb scope:SCOPE_SE
	s_wait_dscnt 0x0
	s_barrier_signal -1
	s_barrier_wait -1
	global_inv scope:SCOPE_SE
	s_and_saveexec_b32 s0, vcc_lo
	s_cbranch_execz .LBB0_31
; %bb.30:
	v_mul_i32_i24_e32 v16, 3, v57
	v_mul_u32_u24_e32 v18, 3, v53
	s_delay_alu instid0(VALU_DEP_1) | instskip(NEXT) | instid1(VALU_DEP_1)
	v_dual_mov_b32 v17, 0 :: v_dual_lshlrev_b32 v32, 4, v18
	v_lshlrev_b64_e32 v[16:17], 4, v[16:17]
	s_delay_alu instid0(VALU_DEP_1) | instskip(SKIP_1) | instid1(VALU_DEP_2)
	v_add_co_u32 v36, vcc_lo, s4, v16
	s_wait_alu 0xfffd
	v_add_co_ci_u32_e32 v37, vcc_lo, s5, v17, vcc_lo
	s_clause 0x5
	global_load_b128 v[16:19], v32, s[4:5] offset:4560
	global_load_b128 v[20:23], v32, s[4:5] offset:4576
	global_load_b128 v[24:27], v[36:37], off offset:4560
	global_load_b128 v[28:31], v[36:37], off offset:4544
	global_load_b128 v[32:35], v32, s[4:5] offset:4544
	global_load_b128 v[40:43], v[36:37], off offset:4576
	v_add_nc_u32_e32 v36, 0x1400, v58
	v_add_nc_u32_e32 v37, 0xc00, v58
	ds_load_2addr_b64 v[44:47], v36 offset0:80 offset1:224
	ds_load_2addr_b64 v[48:51], v37 offset0:48 offset1:192
	ds_load_b64 v[36:37], v59
	ds_load_b64 v[61:62], v58 offset:8064
	ds_load_b64 v[57:58], v58
	s_wait_loadcnt 0x5
	v_mul_f64_e32 v[63:64], v[6:7], v[18:19]
	s_wait_loadcnt_dscnt 0x404
	v_mul_f64_e32 v[65:66], v[46:47], v[22:23]
	s_wait_loadcnt 0x3
	v_mul_f64_e32 v[67:68], v[0:1], v[26:27]
	s_wait_loadcnt_dscnt 0x203
	v_mul_f64_e32 v[69:70], v[48:49], v[30:31]
	v_mul_f64_e32 v[26:27], v[44:45], v[26:27]
	s_wait_loadcnt 0x0
	v_mul_f64_e32 v[73:74], v[14:15], v[42:43]
	s_wait_dscnt 0x1
	v_mul_f64_e32 v[42:43], v[61:62], v[42:43]
	v_mul_f64_e32 v[18:19], v[50:51], v[18:19]
	;; [unrolled: 1-line block ×6, first 2 shown]
	v_fma_f64 v[50:51], v[50:51], v[16:17], v[63:64]
	v_fma_f64 v[2:3], v[2:3], v[20:21], -v[65:66]
	v_add_co_u32 v63, vcc_lo, s10, v38
	v_fma_f64 v[4:5], v[4:5], v[28:29], -v[69:70]
	v_fma_f64 v[0:1], v[0:1], v[24:25], -v[26:27]
	;; [unrolled: 1-line block ×4, first 2 shown]
	v_fma_f64 v[16:17], v[20:21], v[46:47], v[22:23]
	v_fma_f64 v[22:23], v[32:33], v[36:37], v[71:72]
	v_fma_f64 v[12:13], v[12:13], v[32:33], -v[34:35]
	v_fma_f64 v[18:19], v[44:45], v[24:25], v[67:68]
	v_fma_f64 v[20:21], v[28:29], v[48:49], v[30:31]
	;; [unrolled: 1-line block ×3, first 2 shown]
	ds_load_b64 v[24:25], v60
	v_mad_co_u64_u32 v[36:37], null, s8, v54, 0
	v_mul_hi_u32 v46, 0x38e38e39, v52
	s_wait_alu 0xfffd
	v_add_co_ci_u32_e32 v64, vcc_lo, s11, v39, vcc_lo
	s_wait_dscnt 0x1
	v_add_f64_e64 v[26:27], v[57:58], -v[50:51]
	v_add_f64_e64 v[34:35], v[8:9], -v[0:1]
	;; [unrolled: 1-line block ×6, first 2 shown]
	s_wait_dscnt 0x0
	v_add_f64_e64 v[32:33], v[24:25], -v[18:19]
	v_add_f64_e64 v[18:19], v[20:21], -v[28:29]
	v_mad_co_u64_u32 v[28:29], null, s8, v53, 0
	v_fma_f64 v[40:41], v[57:58], 2.0, -v[26:27]
	v_fma_f64 v[44:45], v[8:9], 2.0, -v[34:35]
	;; [unrolled: 1-line block ×3, first 2 shown]
	s_delay_alu instid0(VALU_DEP_4)
	v_mov_b32_e32 v4, v29
	v_fma_f64 v[42:43], v[10:11], 2.0, -v[30:31]
	v_fma_f64 v[0:1], v[22:23], 2.0, -v[16:17]
	;; [unrolled: 1-line block ×4, first 2 shown]
	v_mad_co_u64_u32 v[22:23], null, s8, v56, 0
	v_fma_f64 v[12:13], v[20:21], 2.0, -v[18:19]
	v_mad_co_u64_u32 v[20:21], null, s8, v55, 0
	v_mov_b32_e32 v5, v37
	v_add_f64_e32 v[2:3], v[26:27], v[2:3]
	v_mov_b32_e32 v7, v23
	s_delay_alu instid0(VALU_DEP_3) | instskip(SKIP_2) | instid1(VALU_DEP_2)
	v_mad_co_u64_u32 v[37:38], null, s9, v53, v[4:5]
	v_mov_b32_e32 v6, v21
	v_lshrrev_b32_e32 v21, 6, v46
	v_mad_co_u64_u32 v[4:5], null, s9, v54, v[5:6]
	s_delay_alu instid0(VALU_DEP_2) | instskip(SKIP_1) | instid1(VALU_DEP_2)
	v_mad_u32_u24 v54, 0x360, v21, v52
	v_mad_co_u64_u32 v[5:6], null, s9, v55, v[6:7]
	v_dual_mov_b32 v29, v37 :: v_dual_add_nc_u32 v62, 0x360, v54
	v_mad_co_u64_u32 v[38:39], null, s8, v54, 0
	v_add_nc_u32_e32 v59, 0x120, v54
	s_delay_alu instid0(VALU_DEP_4) | instskip(NEXT) | instid1(VALU_DEP_4)
	v_mov_b32_e32 v21, v5
	v_mad_co_u64_u32 v[50:51], null, s8, v62, 0
	v_mov_b32_e32 v37, v4
	v_mad_co_u64_u32 v[6:7], null, s9, v56, v[7:8]
	v_add_f64_e64 v[4:5], v[42:43], -v[10:11]
	v_add_f64_e32 v[10:11], v[32:33], v[14:15]
	s_delay_alu instid0(VALU_DEP_3)
	v_mov_b32_e32 v23, v6
	v_add_f64_e64 v[6:7], v[40:41], -v[0:1]
	v_add_f64_e64 v[0:1], v[30:31], -v[16:17]
	;; [unrolled: 1-line block ×5, first 2 shown]
	v_mov_b32_e32 v18, v39
	v_mad_co_u64_u32 v[46:47], null, s8, v59, 0
	v_add_nc_u32_e32 v61, 0x240, v54
	v_lshlrev_b64_e32 v[16:17], 4, v[28:29]
	s_delay_alu instid0(VALU_DEP_4)
	v_mad_co_u64_u32 v[54:55], null, s9, v54, v[18:19]
	v_lshlrev_b64_e32 v[28:29], 4, v[36:37]
	v_lshlrev_b64_e32 v[36:37], 4, v[20:21]
	v_mov_b32_e32 v18, v47
	v_mad_co_u64_u32 v[48:49], null, s8, v61, 0
	v_mov_b32_e32 v20, v51
	v_add_co_u32 v55, vcc_lo, v63, v16
	v_lshlrev_b64_e32 v[52:53], 4, v[22:23]
	s_wait_alu 0xfffd
	v_add_co_ci_u32_e32 v56, vcc_lo, v64, v17, vcc_lo
	v_mov_b32_e32 v19, v49
	v_add_co_u32 v57, vcc_lo, v63, v28
	s_wait_alu 0xfffd
	v_add_co_ci_u32_e32 v58, vcc_lo, v64, v29, vcc_lo
	s_delay_alu instid0(VALU_DEP_3)
	v_mad_co_u64_u32 v[59:60], null, s9, v59, v[18:19]
	v_mad_co_u64_u32 v[60:61], null, s9, v61, v[19:20]
	v_mad_co_u64_u32 v[61:62], null, s9, v62, v[20:21]
	v_fma_f64 v[20:21], v[42:43], 2.0, -v[4:5]
	v_fma_f64 v[18:19], v[26:27], 2.0, -v[2:3]
	;; [unrolled: 1-line block ×3, first 2 shown]
	v_mov_b32_e32 v39, v54
	v_fma_f64 v[22:23], v[40:41], 2.0, -v[6:7]
	v_fma_f64 v[16:17], v[30:31], 2.0, -v[0:1]
	;; [unrolled: 1-line block ×5, first 2 shown]
	v_mov_b32_e32 v47, v59
	v_add_co_u32 v32, vcc_lo, v63, v36
	v_lshlrev_b64_e32 v[34:35], 4, v[38:39]
	v_mov_b32_e32 v49, v60
	s_wait_alu 0xfffd
	v_add_co_ci_u32_e32 v33, vcc_lo, v64, v37, vcc_lo
	v_add_co_u32 v36, vcc_lo, v63, v52
	v_lshlrev_b64_e32 v[38:39], 4, v[46:47]
	v_mov_b32_e32 v51, v61
	s_wait_alu 0xfffd
	v_add_co_ci_u32_e32 v37, vcc_lo, v64, v53, vcc_lo
	v_lshlrev_b64_e32 v[40:41], 4, v[48:49]
	v_add_co_u32 v34, vcc_lo, v63, v34
	s_wait_alu 0xfffd
	v_add_co_ci_u32_e32 v35, vcc_lo, v64, v35, vcc_lo
	v_lshlrev_b64_e32 v[42:43], 4, v[50:51]
	v_add_co_u32 v38, vcc_lo, v63, v38
	s_wait_alu 0xfffd
	v_add_co_ci_u32_e32 v39, vcc_lo, v64, v39, vcc_lo
	v_add_co_u32 v40, vcc_lo, v63, v40
	s_wait_alu 0xfffd
	v_add_co_ci_u32_e32 v41, vcc_lo, v64, v41, vcc_lo
	;; [unrolled: 3-line block ×3, first 2 shown]
	s_clause 0x7
	global_store_b128 v[55:56], v[20:23], off
	global_store_b128 v[57:58], v[16:19], off
	;; [unrolled: 1-line block ×8, first 2 shown]
.LBB0_31:
	s_nop 0
	s_sendmsg sendmsg(MSG_DEALLOC_VGPRS)
	s_endpgm
	.section	.rodata,"a",@progbits
	.p2align	6, 0x0
	.amdhsa_kernel fft_rtc_fwd_len1152_factors_4_3_8_3_4_wgs_144_tpt_144_halfLds_dp_ip_CI_sbrr_dirReg
		.amdhsa_group_segment_fixed_size 0
		.amdhsa_private_segment_fixed_size 0
		.amdhsa_kernarg_size 88
		.amdhsa_user_sgpr_count 2
		.amdhsa_user_sgpr_dispatch_ptr 0
		.amdhsa_user_sgpr_queue_ptr 0
		.amdhsa_user_sgpr_kernarg_segment_ptr 1
		.amdhsa_user_sgpr_dispatch_id 0
		.amdhsa_user_sgpr_private_segment_size 0
		.amdhsa_wavefront_size32 1
		.amdhsa_uses_dynamic_stack 0
		.amdhsa_enable_private_segment 0
		.amdhsa_system_sgpr_workgroup_id_x 1
		.amdhsa_system_sgpr_workgroup_id_y 0
		.amdhsa_system_sgpr_workgroup_id_z 0
		.amdhsa_system_sgpr_workgroup_info 0
		.amdhsa_system_vgpr_workitem_id 0
		.amdhsa_next_free_vgpr 90
		.amdhsa_next_free_sgpr 35
		.amdhsa_reserve_vcc 1
		.amdhsa_float_round_mode_32 0
		.amdhsa_float_round_mode_16_64 0
		.amdhsa_float_denorm_mode_32 3
		.amdhsa_float_denorm_mode_16_64 3
		.amdhsa_fp16_overflow 0
		.amdhsa_workgroup_processor_mode 1
		.amdhsa_memory_ordered 1
		.amdhsa_forward_progress 0
		.amdhsa_round_robin_scheduling 0
		.amdhsa_exception_fp_ieee_invalid_op 0
		.amdhsa_exception_fp_denorm_src 0
		.amdhsa_exception_fp_ieee_div_zero 0
		.amdhsa_exception_fp_ieee_overflow 0
		.amdhsa_exception_fp_ieee_underflow 0
		.amdhsa_exception_fp_ieee_inexact 0
		.amdhsa_exception_int_div_zero 0
	.end_amdhsa_kernel
	.text
.Lfunc_end0:
	.size	fft_rtc_fwd_len1152_factors_4_3_8_3_4_wgs_144_tpt_144_halfLds_dp_ip_CI_sbrr_dirReg, .Lfunc_end0-fft_rtc_fwd_len1152_factors_4_3_8_3_4_wgs_144_tpt_144_halfLds_dp_ip_CI_sbrr_dirReg
                                        ; -- End function
	.section	.AMDGPU.csdata,"",@progbits
; Kernel info:
; codeLenInByte = 7240
; NumSgprs: 37
; NumVgprs: 90
; ScratchSize: 0
; MemoryBound: 1
; FloatMode: 240
; IeeeMode: 1
; LDSByteSize: 0 bytes/workgroup (compile time only)
; SGPRBlocks: 4
; VGPRBlocks: 11
; NumSGPRsForWavesPerEU: 37
; NumVGPRsForWavesPerEU: 90
; Occupancy: 15
; WaveLimiterHint : 1
; COMPUTE_PGM_RSRC2:SCRATCH_EN: 0
; COMPUTE_PGM_RSRC2:USER_SGPR: 2
; COMPUTE_PGM_RSRC2:TRAP_HANDLER: 0
; COMPUTE_PGM_RSRC2:TGID_X_EN: 1
; COMPUTE_PGM_RSRC2:TGID_Y_EN: 0
; COMPUTE_PGM_RSRC2:TGID_Z_EN: 0
; COMPUTE_PGM_RSRC2:TIDIG_COMP_CNT: 0
	.text
	.p2alignl 7, 3214868480
	.fill 96, 4, 3214868480
	.type	__hip_cuid_a97003d8dfce2628,@object ; @__hip_cuid_a97003d8dfce2628
	.section	.bss,"aw",@nobits
	.globl	__hip_cuid_a97003d8dfce2628
__hip_cuid_a97003d8dfce2628:
	.byte	0                               ; 0x0
	.size	__hip_cuid_a97003d8dfce2628, 1

	.ident	"AMD clang version 19.0.0git (https://github.com/RadeonOpenCompute/llvm-project roc-6.4.0 25133 c7fe45cf4b819c5991fe208aaa96edf142730f1d)"
	.section	".note.GNU-stack","",@progbits
	.addrsig
	.addrsig_sym __hip_cuid_a97003d8dfce2628
	.amdgpu_metadata
---
amdhsa.kernels:
  - .args:
      - .actual_access:  read_only
        .address_space:  global
        .offset:         0
        .size:           8
        .value_kind:     global_buffer
      - .offset:         8
        .size:           8
        .value_kind:     by_value
      - .actual_access:  read_only
        .address_space:  global
        .offset:         16
        .size:           8
        .value_kind:     global_buffer
      - .actual_access:  read_only
        .address_space:  global
        .offset:         24
        .size:           8
        .value_kind:     global_buffer
      - .offset:         32
        .size:           8
        .value_kind:     by_value
      - .actual_access:  read_only
        .address_space:  global
        .offset:         40
        .size:           8
        .value_kind:     global_buffer
      - .actual_access:  read_only
        .address_space:  global
        .offset:         48
        .size:           8
        .value_kind:     global_buffer
      - .offset:         56
        .size:           4
        .value_kind:     by_value
      - .actual_access:  read_only
        .address_space:  global
        .offset:         64
        .size:           8
        .value_kind:     global_buffer
      - .actual_access:  read_only
        .address_space:  global
        .offset:         72
        .size:           8
        .value_kind:     global_buffer
      - .address_space:  global
        .offset:         80
        .size:           8
        .value_kind:     global_buffer
    .group_segment_fixed_size: 0
    .kernarg_segment_align: 8
    .kernarg_segment_size: 88
    .language:       OpenCL C
    .language_version:
      - 2
      - 0
    .max_flat_workgroup_size: 144
    .name:           fft_rtc_fwd_len1152_factors_4_3_8_3_4_wgs_144_tpt_144_halfLds_dp_ip_CI_sbrr_dirReg
    .private_segment_fixed_size: 0
    .sgpr_count:     37
    .sgpr_spill_count: 0
    .symbol:         fft_rtc_fwd_len1152_factors_4_3_8_3_4_wgs_144_tpt_144_halfLds_dp_ip_CI_sbrr_dirReg.kd
    .uniform_work_group_size: 1
    .uses_dynamic_stack: false
    .vgpr_count:     90
    .vgpr_spill_count: 0
    .wavefront_size: 32
    .workgroup_processor_mode: 1
amdhsa.target:   amdgcn-amd-amdhsa--gfx1201
amdhsa.version:
  - 1
  - 2
...

	.end_amdgpu_metadata
